;; amdgpu-corpus repo=ROCm/rocFFT kind=compiled arch=gfx906 opt=O3
	.text
	.amdgcn_target "amdgcn-amd-amdhsa--gfx906"
	.amdhsa_code_object_version 6
	.protected	fft_rtc_fwd_len1872_factors_13_3_4_6_2_wgs_156_tpt_156_halfLds_sp_ip_CI_unitstride_sbrr_R2C_dirReg ; -- Begin function fft_rtc_fwd_len1872_factors_13_3_4_6_2_wgs_156_tpt_156_halfLds_sp_ip_CI_unitstride_sbrr_R2C_dirReg
	.globl	fft_rtc_fwd_len1872_factors_13_3_4_6_2_wgs_156_tpt_156_halfLds_sp_ip_CI_unitstride_sbrr_R2C_dirReg
	.p2align	8
	.type	fft_rtc_fwd_len1872_factors_13_3_4_6_2_wgs_156_tpt_156_halfLds_sp_ip_CI_unitstride_sbrr_R2C_dirReg,@function
fft_rtc_fwd_len1872_factors_13_3_4_6_2_wgs_156_tpt_156_halfLds_sp_ip_CI_unitstride_sbrr_R2C_dirReg: ; @fft_rtc_fwd_len1872_factors_13_3_4_6_2_wgs_156_tpt_156_halfLds_sp_ip_CI_unitstride_sbrr_R2C_dirReg
; %bb.0:
	s_load_dwordx2 s[2:3], s[4:5], 0x50
	s_load_dwordx4 s[8:11], s[4:5], 0x0
	s_load_dwordx2 s[12:13], s[4:5], 0x18
	v_mul_u32_u24_e32 v1, 0x1a5, v0
	v_add_u32_sdwa v5, s6, v1 dst_sel:DWORD dst_unused:UNUSED_PAD src0_sel:DWORD src1_sel:WORD_1
	v_mov_b32_e32 v3, 0
	s_waitcnt lgkmcnt(0)
	v_cmp_lt_u64_e64 s[0:1], s[10:11], 2
	v_mov_b32_e32 v1, 0
	v_mov_b32_e32 v6, v3
	s_and_b64 vcc, exec, s[0:1]
	v_mov_b32_e32 v2, 0
	s_cbranch_vccnz .LBB0_8
; %bb.1:
	s_load_dwordx2 s[0:1], s[4:5], 0x10
	s_add_u32 s6, s12, 8
	s_addc_u32 s7, s13, 0
	v_mov_b32_e32 v1, 0
	v_mov_b32_e32 v2, 0
	s_waitcnt lgkmcnt(0)
	s_add_u32 s14, s0, 8
	s_addc_u32 s15, s1, 0
	s_mov_b64 s[16:17], 1
.LBB0_2:                                ; =>This Inner Loop Header: Depth=1
	s_load_dwordx2 s[18:19], s[14:15], 0x0
                                        ; implicit-def: $vgpr7_vgpr8
	s_waitcnt lgkmcnt(0)
	v_or_b32_e32 v4, s19, v6
	v_cmp_ne_u64_e32 vcc, 0, v[3:4]
	s_and_saveexec_b64 s[0:1], vcc
	s_xor_b64 s[20:21], exec, s[0:1]
	s_cbranch_execz .LBB0_4
; %bb.3:                                ;   in Loop: Header=BB0_2 Depth=1
	v_cvt_f32_u32_e32 v4, s18
	v_cvt_f32_u32_e32 v7, s19
	s_sub_u32 s0, 0, s18
	s_subb_u32 s1, 0, s19
	v_mac_f32_e32 v4, 0x4f800000, v7
	v_rcp_f32_e32 v4, v4
	v_mul_f32_e32 v4, 0x5f7ffffc, v4
	v_mul_f32_e32 v7, 0x2f800000, v4
	v_trunc_f32_e32 v7, v7
	v_mac_f32_e32 v4, 0xcf800000, v7
	v_cvt_u32_f32_e32 v7, v7
	v_cvt_u32_f32_e32 v4, v4
	v_mul_lo_u32 v8, s0, v7
	v_mul_hi_u32 v9, s0, v4
	v_mul_lo_u32 v11, s1, v4
	v_mul_lo_u32 v10, s0, v4
	v_add_u32_e32 v8, v9, v8
	v_add_u32_e32 v8, v8, v11
	v_mul_hi_u32 v9, v4, v10
	v_mul_lo_u32 v11, v4, v8
	v_mul_hi_u32 v13, v4, v8
	v_mul_hi_u32 v12, v7, v10
	v_mul_lo_u32 v10, v7, v10
	v_mul_hi_u32 v14, v7, v8
	v_add_co_u32_e32 v9, vcc, v9, v11
	v_addc_co_u32_e32 v11, vcc, 0, v13, vcc
	v_mul_lo_u32 v8, v7, v8
	v_add_co_u32_e32 v9, vcc, v9, v10
	v_addc_co_u32_e32 v9, vcc, v11, v12, vcc
	v_addc_co_u32_e32 v10, vcc, 0, v14, vcc
	v_add_co_u32_e32 v8, vcc, v9, v8
	v_addc_co_u32_e32 v9, vcc, 0, v10, vcc
	v_add_co_u32_e32 v4, vcc, v4, v8
	v_addc_co_u32_e32 v7, vcc, v7, v9, vcc
	v_mul_lo_u32 v8, s0, v7
	v_mul_hi_u32 v9, s0, v4
	v_mul_lo_u32 v10, s1, v4
	v_mul_lo_u32 v11, s0, v4
	v_add_u32_e32 v8, v9, v8
	v_add_u32_e32 v8, v8, v10
	v_mul_lo_u32 v12, v4, v8
	v_mul_hi_u32 v13, v4, v11
	v_mul_hi_u32 v14, v4, v8
	;; [unrolled: 1-line block ×3, first 2 shown]
	v_mul_lo_u32 v11, v7, v11
	v_mul_hi_u32 v9, v7, v8
	v_add_co_u32_e32 v12, vcc, v13, v12
	v_addc_co_u32_e32 v13, vcc, 0, v14, vcc
	v_mul_lo_u32 v8, v7, v8
	v_add_co_u32_e32 v11, vcc, v12, v11
	v_addc_co_u32_e32 v10, vcc, v13, v10, vcc
	v_addc_co_u32_e32 v9, vcc, 0, v9, vcc
	v_add_co_u32_e32 v8, vcc, v10, v8
	v_addc_co_u32_e32 v9, vcc, 0, v9, vcc
	v_add_co_u32_e32 v4, vcc, v4, v8
	v_addc_co_u32_e32 v9, vcc, v7, v9, vcc
	v_mad_u64_u32 v[7:8], s[0:1], v5, v9, 0
	v_mul_hi_u32 v10, v5, v4
	v_add_co_u32_e32 v11, vcc, v10, v7
	v_addc_co_u32_e32 v12, vcc, 0, v8, vcc
	v_mad_u64_u32 v[7:8], s[0:1], v6, v4, 0
	v_mad_u64_u32 v[9:10], s[0:1], v6, v9, 0
	v_add_co_u32_e32 v4, vcc, v11, v7
	v_addc_co_u32_e32 v4, vcc, v12, v8, vcc
	v_addc_co_u32_e32 v7, vcc, 0, v10, vcc
	v_add_co_u32_e32 v4, vcc, v4, v9
	v_addc_co_u32_e32 v9, vcc, 0, v7, vcc
	v_mul_lo_u32 v10, s19, v4
	v_mul_lo_u32 v11, s18, v9
	v_mad_u64_u32 v[7:8], s[0:1], s18, v4, 0
	v_add3_u32 v8, v8, v11, v10
	v_sub_u32_e32 v10, v6, v8
	v_mov_b32_e32 v11, s19
	v_sub_co_u32_e32 v7, vcc, v5, v7
	v_subb_co_u32_e64 v10, s[0:1], v10, v11, vcc
	v_subrev_co_u32_e64 v11, s[0:1], s18, v7
	v_subbrev_co_u32_e64 v10, s[0:1], 0, v10, s[0:1]
	v_cmp_le_u32_e64 s[0:1], s19, v10
	v_cndmask_b32_e64 v12, 0, -1, s[0:1]
	v_cmp_le_u32_e64 s[0:1], s18, v11
	v_cndmask_b32_e64 v11, 0, -1, s[0:1]
	v_cmp_eq_u32_e64 s[0:1], s19, v10
	v_cndmask_b32_e64 v10, v12, v11, s[0:1]
	v_add_co_u32_e64 v11, s[0:1], 2, v4
	v_addc_co_u32_e64 v12, s[0:1], 0, v9, s[0:1]
	v_add_co_u32_e64 v13, s[0:1], 1, v4
	v_addc_co_u32_e64 v14, s[0:1], 0, v9, s[0:1]
	v_subb_co_u32_e32 v8, vcc, v6, v8, vcc
	v_cmp_ne_u32_e64 s[0:1], 0, v10
	v_cmp_le_u32_e32 vcc, s19, v8
	v_cndmask_b32_e64 v10, v14, v12, s[0:1]
	v_cndmask_b32_e64 v12, 0, -1, vcc
	v_cmp_le_u32_e32 vcc, s18, v7
	v_cndmask_b32_e64 v7, 0, -1, vcc
	v_cmp_eq_u32_e32 vcc, s19, v8
	v_cndmask_b32_e32 v7, v12, v7, vcc
	v_cmp_ne_u32_e32 vcc, 0, v7
	v_cndmask_b32_e64 v7, v13, v11, s[0:1]
	v_cndmask_b32_e32 v8, v9, v10, vcc
	v_cndmask_b32_e32 v7, v4, v7, vcc
.LBB0_4:                                ;   in Loop: Header=BB0_2 Depth=1
	s_andn2_saveexec_b64 s[0:1], s[20:21]
	s_cbranch_execz .LBB0_6
; %bb.5:                                ;   in Loop: Header=BB0_2 Depth=1
	v_cvt_f32_u32_e32 v4, s18
	s_sub_i32 s20, 0, s18
	v_rcp_iflag_f32_e32 v4, v4
	v_mul_f32_e32 v4, 0x4f7ffffe, v4
	v_cvt_u32_f32_e32 v4, v4
	v_mul_lo_u32 v7, s20, v4
	v_mul_hi_u32 v7, v4, v7
	v_add_u32_e32 v4, v4, v7
	v_mul_hi_u32 v4, v5, v4
	v_mul_lo_u32 v7, v4, s18
	v_add_u32_e32 v8, 1, v4
	v_sub_u32_e32 v7, v5, v7
	v_subrev_u32_e32 v9, s18, v7
	v_cmp_le_u32_e32 vcc, s18, v7
	v_cndmask_b32_e32 v7, v7, v9, vcc
	v_cndmask_b32_e32 v4, v4, v8, vcc
	v_add_u32_e32 v8, 1, v4
	v_cmp_le_u32_e32 vcc, s18, v7
	v_cndmask_b32_e32 v7, v4, v8, vcc
	v_mov_b32_e32 v8, v3
.LBB0_6:                                ;   in Loop: Header=BB0_2 Depth=1
	s_or_b64 exec, exec, s[0:1]
	v_mul_lo_u32 v4, v8, s18
	v_mul_lo_u32 v11, v7, s19
	v_mad_u64_u32 v[9:10], s[0:1], v7, s18, 0
	s_load_dwordx2 s[0:1], s[6:7], 0x0
	s_add_u32 s16, s16, 1
	v_add3_u32 v4, v10, v11, v4
	v_sub_co_u32_e32 v5, vcc, v5, v9
	v_subb_co_u32_e32 v4, vcc, v6, v4, vcc
	s_waitcnt lgkmcnt(0)
	v_mul_lo_u32 v4, s0, v4
	v_mul_lo_u32 v6, s1, v5
	v_mad_u64_u32 v[1:2], s[0:1], s0, v5, v[1:2]
	s_addc_u32 s17, s17, 0
	s_add_u32 s6, s6, 8
	v_add3_u32 v2, v6, v2, v4
	v_mov_b32_e32 v4, s10
	v_mov_b32_e32 v5, s11
	s_addc_u32 s7, s7, 0
	v_cmp_ge_u64_e32 vcc, s[16:17], v[4:5]
	s_add_u32 s14, s14, 8
	s_addc_u32 s15, s15, 0
	s_cbranch_vccnz .LBB0_9
; %bb.7:                                ;   in Loop: Header=BB0_2 Depth=1
	v_mov_b32_e32 v5, v7
	v_mov_b32_e32 v6, v8
	s_branch .LBB0_2
.LBB0_8:
	v_mov_b32_e32 v8, v6
	v_mov_b32_e32 v7, v5
.LBB0_9:
	s_lshl_b64 s[0:1], s[10:11], 3
	s_add_u32 s0, s12, s0
	s_addc_u32 s1, s13, s1
	s_load_dwordx2 s[6:7], s[0:1], 0x0
	s_load_dwordx2 s[10:11], s[4:5], 0x20
	s_waitcnt lgkmcnt(0)
	v_mad_u64_u32 v[1:2], s[0:1], s6, v7, v[1:2]
	s_mov_b32 s0, 0x1a41a42
	v_mul_lo_u32 v3, s6, v8
	v_mul_lo_u32 v4, s7, v7
	v_mul_hi_u32 v5, v0, s0
	v_cmp_gt_u64_e64 s[0:1], s[10:11], v[7:8]
	v_add3_u32 v2, v4, v2, v3
	v_mul_u32_u24_e32 v3, 0x9c, v5
	v_sub_u32_e32 v24, v0, v3
	v_lshlrev_b64 v[26:27], 3, v[1:2]
	v_lshl_add_u32 v30, v24, 3, 0
	s_and_saveexec_b64 s[4:5], s[0:1]
	s_cbranch_execz .LBB0_11
; %bb.10:
	v_mov_b32_e32 v25, 0
	v_mov_b32_e32 v0, s3
	v_add_co_u32_e32 v2, vcc, s2, v26
	v_addc_co_u32_e32 v3, vcc, v0, v27, vcc
	v_lshlrev_b64 v[0:1], 3, v[24:25]
	s_movk_i32 s6, 0x1000
	v_add_co_u32_e32 v0, vcc, v2, v0
	v_addc_co_u32_e32 v1, vcc, v3, v1, vcc
	v_add_co_u32_e32 v10, vcc, s6, v0
	v_addc_co_u32_e32 v11, vcc, 0, v1, vcc
	s_movk_i32 s6, 0x2000
	v_add_co_u32_e32 v12, vcc, s6, v0
	v_addc_co_u32_e32 v13, vcc, 0, v1, vcc
	global_load_dwordx2 v[2:3], v[0:1], off offset:3744
	global_load_dwordx2 v[4:5], v[0:1], off
	global_load_dwordx2 v[6:7], v[0:1], off offset:2496
	global_load_dwordx2 v[8:9], v[0:1], off offset:1248
	v_add_co_u32_e32 v0, vcc, 0x3000, v0
	global_load_dwordx2 v[14:15], v[10:11], off offset:896
	global_load_dwordx2 v[16:17], v[10:11], off offset:2144
	;; [unrolled: 1-line block ×4, first 2 shown]
	v_addc_co_u32_e32 v1, vcc, 0, v1, vcc
	global_load_dwordx2 v[10:11], v[12:13], off offset:1792
	global_load_dwordx2 v[22:23], v[12:13], off offset:3040
	;; [unrolled: 1-line block ×4, first 2 shown]
	v_add_u32_e32 v0, 0x800, v30
	v_add_u32_e32 v1, 0x1200, v30
	v_add_u32_e32 v12, 0x1c00, v30
	v_add_u32_e32 v13, 0x2400, v30
	s_waitcnt vmcnt(9)
	ds_write2_b64 v0, v[6:7], v[2:3] offset0:56 offset1:212
	s_waitcnt vmcnt(8)
	ds_write2_b64 v30, v[4:5], v[8:9] offset1:156
	s_waitcnt vmcnt(6)
	ds_write2_b64 v1, v[14:15], v[16:17] offset0:48 offset1:204
	s_waitcnt vmcnt(4)
	ds_write2_b64 v12, v[18:19], v[20:21] offset0:40 offset1:196
	;; [unrolled: 2-line block ×3, first 2 shown]
	v_add_u32_e32 v0, 0x3000, v30
	s_waitcnt vmcnt(0)
	ds_write2_b64 v0, v[28:29], v[31:32] offset0:24 offset1:180
.LBB0_11:
	s_or_b64 exec, exec, s[4:5]
	v_add_u32_e32 v4, 0x1000, v30
	s_waitcnt lgkmcnt(0)
	s_barrier
	ds_read2_b64 v[12:15], v4 offset0:64 offset1:208
	v_add_u32_e32 v4, 0x1800, v30
	v_add_u32_e32 v8, 0x2c00, v30
	ds_read2_b64 v[0:3], v30 offset1:144
	v_add_u32_e32 v31, 0x800, v30
	ds_read2_b64 v[4:7], v4 offset0:96 offset1:240
	v_add_u32_e32 v32, 0x2400, v30
	ds_read_b64 v[28:29], v30 offset:13824
	ds_read2_b64 v[8:11], v8 offset0:32 offset1:176
	ds_read2_b64 v[16:19], v31 offset0:32 offset1:176
	ds_read2_b64 v[20:23], v32 offset1:144
	s_movk_i32 s4, 0x90
	s_movk_i32 s6, 0x1000
	v_cmp_gt_u32_e32 vcc, s4, v24
	s_waitcnt lgkmcnt(0)
	s_barrier
	s_and_saveexec_b64 s[4:5], vcc
	s_cbranch_execz .LBB0_13
; %bb.12:
	v_add_f32_e32 v25, v1, v3
	v_add_f32_e32 v25, v25, v17
	;; [unrolled: 1-line block ×11, first 2 shown]
	v_sub_f32_e32 v37, v14, v20
	v_sub_f32_e32 v38, v13, v23
	v_add_f32_e32 v13, v20, v14
	v_add_f32_e32 v14, v34, v5
	;; [unrolled: 1-line block ×8, first 2 shown]
	v_sub_f32_e32 v36, v12, v22
	v_add_f32_e32 v12, v22, v12
	v_add_f32_e32 v22, v14, v22
	;; [unrolled: 1-line block ×3, first 2 shown]
	v_sub_f32_e32 v39, v15, v21
	v_sub_f32_e32 v35, v18, v8
	v_add_f32_e32 v15, v8, v18
	v_add_f32_e32 v8, v22, v8
	v_sub_f32_e32 v34, v16, v10
	v_add_f32_e32 v21, v9, v19
	v_add_f32_e32 v14, v10, v16
	;; [unrolled: 3-line block ×3, first 2 shown]
	v_add_f32_e32 v10, v29, v3
	v_add_f32_e32 v20, v11, v17
	v_sub_f32_e32 v40, v17, v11
	v_add_f32_e32 v9, v9, v11
	v_mul_f32_e32 v11, 0x3df6dbef, v10
	v_mul_f32_e32 v19, 0xbeb58ec6, v10
	;; [unrolled: 1-line block ×3, first 2 shown]
	v_sub_f32_e32 v16, v2, v28
	v_mov_b32_e32 v17, v11
	v_mov_b32_e32 v22, v19
	;; [unrolled: 1-line block ×3, first 2 shown]
	v_fmac_f32_e32 v17, 0x3f7e222b, v16
	v_fmac_f32_e32 v22, 0x3f6f5d39, v16
	;; [unrolled: 1-line block ×3, first 2 shown]
	v_mul_f32_e32 v42, 0xbe750f2a, v16
	v_fmac_f32_e32 v23, 0xbf29c268, v16
	v_fmac_f32_e32 v19, 0xbf6f5d39, v16
	v_fmac_f32_e32 v11, 0xbf7e222b, v16
	v_mul_f32_e32 v44, 0xbf52af12, v16
	v_mul_f32_e32 v16, 0xbeedf032, v16
	s_mov_b32 s7, 0xbf788fa5
	s_mov_b32 s11, 0x3f62ad3f
	;; [unrolled: 1-line block ×3, first 2 shown]
	v_mov_b32_e32 v43, v42
	v_mov_b32_e32 v45, v44
	;; [unrolled: 1-line block ×3, first 2 shown]
	v_sub_f32_e32 v3, v3, v29
	v_fmac_f32_e32 v43, 0xbf788fa5, v10
	v_fmac_f32_e32 v45, 0x3f116cb1, v10
	;; [unrolled: 1-line block ×3, first 2 shown]
	v_fma_f32 v42, v10, s7, -v42
	v_fma_f32 v44, v10, s10, -v44
	v_fma_f32 v10, v10, s11, -v16
	v_add_f32_e32 v2, v28, v2
	v_mul_f32_e32 v16, 0xbf7e222b, v3
	v_mul_f32_e32 v48, 0xbf6f5d39, v3
	v_mul_f32_e32 v50, 0xbf29c268, v3
	v_mul_f32_e32 v52, 0xbe750f2a, v3
	v_mul_f32_e32 v53, 0xbf52af12, v3
	v_mul_f32_e32 v3, 0xbeedf032, v3
	v_fma_f32 v56, v2, s11, -v3
	v_fmac_f32_e32 v3, 0x3f62ad3f, v2
	v_mul_f32_e32 v62, 0xbf52af12, v34
	s_mov_b32 s14, 0x3df6dbef
	s_mov_b32 s13, 0xbeb58ec6
	;; [unrolled: 1-line block ×3, first 2 shown]
	v_mov_b32_e32 v47, v16
	v_mov_b32_e32 v49, v48
	;; [unrolled: 1-line block ×3, first 2 shown]
	v_add_f32_e32 v57, v1, v11
	v_add_f32_e32 v11, v0, v56
	;; [unrolled: 1-line block ×3, first 2 shown]
	v_mov_b32_e32 v3, v62
	v_fmac_f32_e32 v47, 0x3df6dbef, v2
	v_fmac_f32_e32 v49, 0xbeb58ec6, v2
	;; [unrolled: 1-line block ×3, first 2 shown]
	v_fma_f32 v50, v2, s12, -v50
	v_fma_f32 v48, v2, s13, -v48
	;; [unrolled: 1-line block ×4, first 2 shown]
	v_fmac_f32_e32 v52, 0xbf788fa5, v2
	v_fma_f32 v55, v2, s10, -v53
	v_fmac_f32_e32 v53, 0x3f116cb1, v2
	v_add_f32_e32 v2, v1, v46
	v_fmac_f32_e32 v3, 0x3f116cb1, v20
	v_mul_f32_e32 v63, 0xbf7e222b, v35
	v_add_f32_e32 v2, v3, v2
	v_mov_b32_e32 v3, v63
	v_fmac_f32_e32 v3, 0x3df6dbef, v21
	v_mul_f32_e32 v64, 0xbf6f5d39, v36
	v_add_f32_e32 v2, v3, v2
	v_mov_b32_e32 v3, v64
	;; [unrolled: 4-line block ×3, first 2 shown]
	v_fmac_f32_e32 v3, 0xbf3f9e67, v33
	v_mul_f32_e32 v66, 0xbf52af12, v40
	v_add_f32_e32 v2, v3, v2
	v_fma_f32 v3, v14, s10, -v66
	v_mul_f32_e32 v67, 0xbf7e222b, v18
	v_sub_f32_e32 v59, v4, v6
	v_add_f32_e32 v60, v6, v4
	v_add_f32_e32 v3, v3, v11
	v_fma_f32 v4, v15, s14, -v67
	v_mul_f32_e32 v68, 0xbf6f5d39, v38
	v_add_f32_e32 v3, v4, v3
	v_fma_f32 v4, v12, s13, -v68
	v_mul_f32_e32 v69, 0xbf29c268, v39
	;; [unrolled: 3-line block ×3, first 2 shown]
	v_add_f32_e32 v58, v7, v5
	v_sub_f32_e32 v61, v5, v7
	v_add_f32_e32 v4, v4, v3
	v_mov_b32_e32 v3, v70
	v_fmac_f32_e32 v3, 0xbf788fa5, v58
	v_mul_f32_e32 v71, 0xbe750f2a, v61
	v_add_f32_e32 v3, v3, v2
	v_fma_f32 v2, v60, s7, -v71
	s_movk_i32 s15, 0x60
	v_add_f32_e32 v17, v1, v17
	v_add_f32_e32 v47, v0, v47
	v_add_f32_e32 v22, v1, v22
	v_add_f32_e32 v49, v0, v49
	v_add_f32_e32 v41, v1, v41
	v_add_f32_e32 v51, v0, v51
	v_add_f32_e32 v43, v1, v43
	v_add_f32_e32 v54, v0, v54
	v_add_f32_e32 v23, v1, v23
	v_add_f32_e32 v50, v0, v50
	v_add_f32_e32 v19, v1, v19
	v_add_f32_e32 v48, v0, v48
	v_add_f32_e32 v16, v0, v16
	v_add_f32_e32 v45, v1, v45
	v_add_f32_e32 v55, v0, v55
	v_add_f32_e32 v42, v1, v42
	v_add_f32_e32 v46, v0, v52
	v_add_f32_e32 v44, v1, v44
	v_add_f32_e32 v52, v0, v53
	v_add_f32_e32 v53, v1, v10
	v_add_f32_e32 v1, v9, v29
	v_add_f32_e32 v0, v8, v28
	v_add_f32_e32 v2, v2, v4
	v_mad_u32_u24 v72, v24, s15, v30
	v_mul_f32_e32 v28, 0xbf788fa5, v20
	ds_write2_b64 v72, v[0:1], v[2:3] offset1:1
	v_mov_b32_e32 v0, v28
	v_fmac_f32_e32 v0, 0x3e750f2a, v34
	v_add_f32_e32 v0, v0, v17
	v_mul_f32_e32 v17, 0xbeb58ec6, v21
	v_mov_b32_e32 v1, v17
	v_fmac_f32_e32 v1, 0xbf6f5d39, v35
	v_mul_f32_e32 v29, 0x3f62ad3f, v25
	v_add_f32_e32 v0, v1, v0
	v_mov_b32_e32 v1, v29
	v_fmac_f32_e32 v1, 0xbeedf032, v36
	v_mul_f32_e32 v73, 0x3f116cb1, v33
	v_add_f32_e32 v0, v1, v0
	;; [unrolled: 4-line block ×3, first 2 shown]
	v_mov_b32_e32 v1, v74
	v_fmac_f32_e32 v1, 0xbf788fa5, v14
	v_add_f32_e32 v1, v1, v47
	v_mul_f32_e32 v47, 0x3f6f5d39, v18
	v_mov_b32_e32 v2, v47
	v_fmac_f32_e32 v2, 0xbeb58ec6, v15
	v_mul_f32_e32 v75, 0x3eedf032, v38
	v_add_f32_e32 v1, v2, v1
	v_mov_b32_e32 v2, v75
	v_fmac_f32_e32 v2, 0x3f62ad3f, v12
	v_mul_f32_e32 v76, 0xbf52af12, v39
	v_add_f32_e32 v1, v2, v1
	;; [unrolled: 4-line block ×5, first 2 shown]
	v_mov_b32_e32 v2, v10
	v_mul_f32_e32 v11, 0x3f62ad3f, v21
	v_fmac_f32_e32 v2, 0xbf29c268, v34
	v_mov_b32_e32 v3, v11
	v_add_f32_e32 v2, v2, v22
	v_fmac_f32_e32 v3, 0xbeedf032, v35
	v_mul_f32_e32 v22, 0x3df6dbef, v25
	v_add_f32_e32 v2, v3, v2
	v_mov_b32_e32 v3, v22
	v_fmac_f32_e32 v3, 0x3f7e222b, v36
	v_mul_f32_e32 v79, 0xbf788fa5, v33
	v_add_f32_e32 v2, v3, v2
	v_mov_b32_e32 v3, v79
	;; [unrolled: 4-line block ×3, first 2 shown]
	v_fmac_f32_e32 v3, 0xbf3f9e67, v14
	v_add_f32_e32 v3, v3, v49
	v_mul_f32_e32 v49, 0x3eedf032, v18
	v_mov_b32_e32 v4, v49
	v_fmac_f32_e32 v4, 0x3f62ad3f, v15
	v_mul_f32_e32 v81, 0xbf7e222b, v38
	v_add_f32_e32 v3, v4, v3
	v_mov_b32_e32 v4, v81
	v_fmac_f32_e32 v4, 0x3df6dbef, v12
	v_mul_f32_e32 v82, 0x3e750f2a, v39
	v_add_f32_e32 v3, v4, v3
	;; [unrolled: 4-line block ×5, first 2 shown]
	v_mov_b32_e32 v4, v8
	v_mul_f32_e32 v9, 0x3f116cb1, v21
	v_fmac_f32_e32 v4, 0xbf7e222b, v34
	v_mov_b32_e32 v5, v9
	v_add_f32_e32 v4, v4, v41
	v_fmac_f32_e32 v5, 0x3f52af12, v35
	v_mul_f32_e32 v41, 0xbf788fa5, v25
	v_add_f32_e32 v4, v5, v4
	v_mov_b32_e32 v5, v41
	v_fmac_f32_e32 v5, 0xbe750f2a, v36
	v_mul_f32_e32 v85, 0x3f62ad3f, v33
	v_add_f32_e32 v4, v5, v4
	v_mov_b32_e32 v5, v85
	;; [unrolled: 4-line block ×3, first 2 shown]
	v_fmac_f32_e32 v5, 0x3df6dbef, v14
	v_add_f32_e32 v5, v5, v51
	v_mul_f32_e32 v51, 0xbf52af12, v18
	v_mov_b32_e32 v6, v51
	v_fmac_f32_e32 v6, 0x3f116cb1, v15
	v_mul_f32_e32 v87, 0x3e750f2a, v38
	v_add_f32_e32 v5, v6, v5
	v_mov_b32_e32 v6, v87
	v_fmac_f32_e32 v10, 0x3f29c268, v34
	v_fmac_f32_e32 v6, 0xbf788fa5, v12
	v_mul_f32_e32 v88, 0x3eedf032, v39
	v_add_f32_e32 v10, v10, v19
	v_fmac_f32_e32 v11, 0x3eedf032, v35
	v_add_f32_e32 v5, v6, v5
	v_mov_b32_e32 v6, v88
	v_add_f32_e32 v10, v11, v10
	v_fma_f32 v11, v14, s12, -v80
	v_fmac_f32_e32 v6, 0x3f62ad3f, v13
	v_mul_f32_e32 v89, 0xbeb58ec6, v58
	v_fmac_f32_e32 v22, 0xbf7e222b, v36
	v_add_f32_e32 v11, v11, v48
	v_fma_f32 v19, v15, s11, -v49
	v_add_f32_e32 v6, v6, v5
	v_mov_b32_e32 v5, v89
	v_add_f32_e32 v10, v22, v10
	v_fmac_f32_e32 v79, 0x3e750f2a, v37
	v_add_f32_e32 v11, v19, v11
	v_fma_f32 v19, v12, s14, -v81
	v_fmac_f32_e32 v5, 0x3f6f5d39, v59
	v_mul_f32_e32 v90, 0xbf6f5d39, v61
	v_add_f32_e32 v10, v79, v10
	v_add_f32_e32 v11, v19, v11
	v_fma_f32 v19, v13, s7, -v82
	v_fmac_f32_e32 v83, 0x3f52af12, v59
	v_add_f32_e32 v5, v5, v4
	v_mov_b32_e32 v4, v90
	v_add_f32_e32 v19, v19, v11
	v_add_f32_e32 v11, v83, v10
	v_fma_f32 v10, v60, s10, -v84
	v_fmac_f32_e32 v28, 0xbe750f2a, v34
	v_fmac_f32_e32 v4, 0xbeb58ec6, v60
	v_mul_f32_e32 v91, 0x3eedf032, v34
	v_add_f32_e32 v10, v10, v19
	v_add_f32_e32 v19, v28, v57
	v_fmac_f32_e32 v17, 0x3f6f5d39, v35
	v_add_f32_e32 v4, v4, v6
	v_mov_b32_e32 v6, v91
	v_add_f32_e32 v17, v17, v19
	v_fma_f32 v19, v14, s7, -v74
	v_fmac_f32_e32 v6, 0x3f62ad3f, v20
	v_add_f32_e32 v16, v19, v16
	v_fma_f32 v19, v15, s13, -v47
	v_add_f32_e32 v6, v6, v43
	v_mul_f32_e32 v43, 0xbf29c268, v35
	v_add_f32_e32 v16, v19, v16
	v_fma_f32 v19, v12, s11, -v75
	v_mov_b32_e32 v7, v43
	v_add_f32_e32 v16, v19, v16
	v_fma_f32 v19, v13, s10, -v76
	v_fmac_f32_e32 v7, 0xbf3f9e67, v21
	v_mul_f32_e32 v92, 0x3f52af12, v36
	v_fmac_f32_e32 v29, 0x3eedf032, v36
	v_add_f32_e32 v16, v19, v16
	v_fma_f32 v19, v60, s12, -v78
	v_mul_f32_e32 v28, 0xbf6f5d39, v34
	v_add_f32_e32 v6, v7, v6
	v_mov_b32_e32 v7, v92
	v_add_f32_e32 v17, v29, v17
	v_add_f32_e32 v16, v19, v16
	v_mov_b32_e32 v19, v28
	v_mul_f32_e32 v29, 0xbe750f2a, v35
	v_fmac_f32_e32 v7, 0x3f116cb1, v25
	v_mul_f32_e32 v93, 0xbf6f5d39, v37
	v_fmac_f32_e32 v19, 0xbeb58ec6, v20
	v_mov_b32_e32 v22, v29
	v_add_f32_e32 v6, v7, v6
	v_mov_b32_e32 v7, v93
	v_fmac_f32_e32 v8, 0x3f7e222b, v34
	v_add_f32_e32 v19, v19, v45
	v_fmac_f32_e32 v22, 0xbf788fa5, v21
	v_mul_f32_e32 v34, 0x3f29c268, v36
	v_fmac_f32_e32 v7, 0xbeb58ec6, v33
	v_mul_f32_e32 v94, 0x3eedf032, v40
	v_add_f32_e32 v19, v22, v19
	v_mov_b32_e32 v22, v34
	v_add_f32_e32 v6, v7, v6
	v_fma_f32 v7, v14, s11, -v94
	v_fmac_f32_e32 v9, 0xbf52af12, v35
	v_fmac_f32_e32 v22, 0xbf3f9e67, v25
	v_mul_f32_e32 v35, 0x3f7e222b, v37
	v_add_f32_e32 v7, v7, v54
	v_mul_f32_e32 v54, 0xbf29c268, v18
	v_add_f32_e32 v19, v22, v19
	v_mov_b32_e32 v22, v35
	v_fma_f32 v95, v15, s12, -v54
	v_fmac_f32_e32 v41, 0x3e750f2a, v36
	v_fmac_f32_e32 v22, 0x3df6dbef, v33
	v_mul_f32_e32 v36, 0xbf6f5d39, v40
	v_add_f32_e32 v7, v95, v7
	v_mul_f32_e32 v95, 0x3f52af12, v38
	v_fmac_f32_e32 v85, 0x3eedf032, v37
	v_fmac_f32_e32 v73, 0xbf52af12, v37
	v_add_f32_e32 v19, v22, v19
	v_fma_f32 v22, v14, s13, -v36
	v_mul_f32_e32 v37, 0xbe750f2a, v18
	v_fma_f32 v96, v12, s10, -v95
	v_add_f32_e32 v22, v22, v55
	v_fma_f32 v18, v15, s7, -v37
	v_mul_f32_e32 v38, 0x3f29c268, v38
	v_add_f32_e32 v7, v96, v7
	v_mul_f32_e32 v96, 0xbf6f5d39, v39
	v_add_f32_e32 v8, v8, v23
	v_add_f32_e32 v18, v18, v22
	v_fma_f32 v22, v12, s12, -v38
	v_mul_f32_e32 v39, 0x3f7e222b, v39
	v_add_f32_e32 v8, v9, v8
	v_fma_f32 v9, v14, s14, -v86
	v_add_f32_e32 v18, v22, v18
	v_fma_f32 v22, v13, s14, -v39
	v_mul_f32_e32 v40, 0x3eedf032, v59
	v_add_f32_e32 v9, v9, v50
	v_fma_f32 v23, v15, s10, -v51
	v_add_f32_e32 v18, v22, v18
	v_mov_b32_e32 v22, v40
	v_add_f32_e32 v8, v41, v8
	v_add_f32_e32 v9, v23, v9
	v_fma_f32 v23, v12, s7, -v87
	v_fmac_f32_e32 v22, 0x3f62ad3f, v58
	v_mul_f32_e32 v41, 0x3eedf032, v61
	v_add_f32_e32 v8, v85, v8
	v_add_f32_e32 v9, v23, v9
	v_fma_f32 v23, v13, s11, -v88
	v_fmac_f32_e32 v89, 0xbf6f5d39, v59
	v_add_f32_e32 v19, v22, v19
	v_fma_f32 v22, v60, s11, -v41
	v_add_f32_e32 v23, v23, v9
	v_add_f32_e32 v9, v89, v8
	v_fma_f32 v8, v60, s13, -v90
	v_add_f32_e32 v18, v22, v18
	v_fma_f32 v22, v20, s11, -v91
	v_fma_f32 v28, v20, s13, -v28
	v_add_f32_e32 v8, v8, v23
	v_add_f32_e32 v22, v22, v42
	v_fma_f32 v23, v21, s12, -v43
	v_add_f32_e32 v28, v28, v44
	v_fma_f32 v29, v21, s7, -v29
	;; [unrolled: 2-line block ×5, first 2 shown]
	v_fmac_f32_e32 v94, 0x3f62ad3f, v14
	v_add_f32_e32 v28, v29, v28
	v_fma_f32 v29, v33, s14, -v35
	v_fmac_f32_e32 v36, 0xbeb58ec6, v14
	v_fma_f32 v20, v20, s10, -v62
	v_fmac_f32_e32 v66, 0x3f116cb1, v14
	v_fma_f32 v97, v13, s13, -v96
	v_mul_f32_e32 v98, 0x3f7e222b, v59
	v_add_f32_e32 v22, v23, v22
	v_add_f32_e32 v23, v94, v46
	v_fmac_f32_e32 v54, 0xbf3f9e67, v15
	v_add_f32_e32 v28, v29, v28
	v_add_f32_e32 v29, v36, v52
	v_fmac_f32_e32 v37, 0xbf788fa5, v15
	v_add_f32_e32 v20, v20, v53
	v_fma_f32 v21, v21, s14, -v63
	v_add_f32_e32 v14, v66, v56
	v_fmac_f32_e32 v67, 0x3df6dbef, v15
	v_add_f32_e32 v97, v97, v7
	v_mov_b32_e32 v7, v98
	v_add_f32_e32 v23, v54, v23
	v_fmac_f32_e32 v95, 0x3f116cb1, v12
	v_add_f32_e32 v29, v37, v29
	v_fmac_f32_e32 v38, 0xbf3f9e67, v12
	v_add_f32_e32 v20, v21, v20
	v_fma_f32 v21, v25, s13, -v64
	v_add_f32_e32 v14, v67, v14
	v_fmac_f32_e32 v68, 0xbeb58ec6, v12
	v_fmac_f32_e32 v7, 0x3df6dbef, v58
	v_mul_f32_e32 v99, 0x3f7e222b, v61
	v_add_f32_e32 v17, v73, v17
	v_fmac_f32_e32 v77, 0xbf29c268, v59
	v_add_f32_e32 v23, v95, v23
	v_fmac_f32_e32 v96, 0xbeb58ec6, v13
	;; [unrolled: 2-line block ×3, first 2 shown]
	v_add_f32_e32 v20, v21, v20
	v_fma_f32 v21, v33, s12, -v65
	v_add_f32_e32 v12, v68, v14
	v_fmac_f32_e32 v69, 0xbf3f9e67, v13
	v_add_f32_e32 v7, v7, v6
	v_fma_f32 v6, v60, s14, -v99
	v_add_f32_e32 v17, v77, v17
	v_add_f32_e32 v42, v96, v23
	v_fma_f32 v23, v58, s14, -v98
	v_fmac_f32_e32 v99, 0x3df6dbef, v60
	v_add_f32_e32 v34, v39, v29
	v_fma_f32 v29, v58, s11, -v40
	v_fmac_f32_e32 v41, 0x3f62ad3f, v60
	v_add_f32_e32 v20, v21, v20
	v_fma_f32 v21, v58, s7, -v70
	v_add_f32_e32 v12, v69, v12
	v_fmac_f32_e32 v71, 0xbf788fa5, v60
	v_add_f32_e32 v6, v6, v97
	v_add_f32_e32 v23, v23, v22
	;; [unrolled: 1-line block ×7, first 2 shown]
	ds_write2_b64 v72, v[18:19], v[16:17] offset0:2 offset1:3
	ds_write2_b64 v72, v[10:11], v[8:9] offset0:4 offset1:5
	;; [unrolled: 1-line block ×5, first 2 shown]
	ds_write_b64 v72, v[12:13] offset:96
.LBB0_13:
	s_or_b64 exec, exec, s[4:5]
	s_movk_i32 s4, 0x4f
	v_add_u32_e32 v25, 0x9c, v24
	v_mul_lo_u16_sdwa v1, v24, s4 dst_sel:DWORD dst_unused:UNUSED_PAD src0_sel:BYTE_0 src1_sel:DWORD
	s_movk_i32 s4, 0x4ec5
	v_lshrrev_b16_e32 v50, 10, v1
	v_mul_u32_u24_sdwa v2, v25, s4 dst_sel:DWORD dst_unused:UNUSED_PAD src0_sel:WORD_0 src1_sel:DWORD
	v_mul_lo_u16_e32 v1, 13, v50
	v_lshrrev_b32_e32 v52, 18, v2
	v_sub_u16_e32 v51, v24, v1
	v_mov_b32_e32 v1, 4
	v_mul_lo_u16_e32 v2, 13, v52
	v_add_u32_e32 v49, 0x138, v24
	v_lshlrev_b32_sdwa v1, v1, v51 dst_sel:DWORD dst_unused:UNUSED_PAD src0_sel:DWORD src1_sel:BYTE_0
	v_sub_u16_e32 v53, v25, v2
	s_waitcnt lgkmcnt(0)
	s_barrier
	v_lshlrev_b32_e32 v2, 4, v53
	global_load_dwordx4 v[4:7], v1, s[8:9]
	global_load_dwordx4 v[8:11], v2, s[8:9]
	v_mul_u32_u24_sdwa v1, v49, s4 dst_sel:DWORD dst_unused:UNUSED_PAD src0_sel:WORD_0 src1_sel:DWORD
	v_lshrrev_b32_e32 v54, 18, v1
	v_add_u32_e32 v0, 0x1d4, v24
	v_mul_lo_u16_e32 v1, 13, v54
	v_sub_u16_e32 v55, v49, v1
	v_mul_u32_u24_sdwa v2, v0, s4 dst_sel:DWORD dst_unused:UNUSED_PAD src0_sel:WORD_0 src1_sel:DWORD
	v_lshlrev_b32_e32 v1, 4, v55
	v_lshrrev_b32_e32 v56, 18, v2
	global_load_dwordx4 v[12:15], v1, s[8:9]
	v_mul_lo_u16_e32 v1, 13, v56
	v_sub_u16_e32 v57, v0, v1
	v_lshlrev_b32_e32 v0, 4, v57
	global_load_dwordx4 v[16:19], v0, s[8:9]
	v_add_u32_e32 v2, 0x1200, v30
	v_add_u32_e32 v28, 0x2000, v30
	v_add_u32_e32 v29, 0x2a00, v30
	ds_read2_b64 v[20:23], v30 offset1:156
	ds_read2_b64 v[33:36], v31 offset0:56 offset1:212
	v_add_u32_e32 v3, 0x1c00, v30
	ds_read2_b64 v[37:40], v2 offset0:48 offset1:204
	ds_read_b64 v[0:1], v30 offset:13728
	ds_read2_b64 v[41:44], v28 offset0:68 offset1:224
	ds_read2_b64 v[45:48], v29 offset0:60 offset1:216
	ds_read2_b32 v[28:29], v3 offset0:80 offset1:81
	s_waitcnt vmcnt(0) lgkmcnt(0)
	s_barrier
	s_movk_i32 s4, 0xa5
	v_mul_f32_e32 v58, v5, v38
	v_mul_f32_e32 v5, v5, v37
	;; [unrolled: 1-line block ×6, first 2 shown]
	v_fmac_f32_e32 v5, v4, v38
	v_fmac_f32_e32 v7, v6, v44
	;; [unrolled: 1-line block ×3, first 2 shown]
	v_mul_f32_e32 v9, v11, v46
	v_mul_f32_e32 v62, v29, v13
	;; [unrolled: 1-line block ×4, first 2 shown]
	v_fma_f32 v28, v12, v28, -v62
	v_fmac_f32_e32 v63, v29, v12
	v_fma_f32 v29, v47, v14, -v13
	v_mul_f32_e32 v15, v47, v15
	v_mul_f32_e32 v64, v42, v17
	v_mul_f32_e32 v65, v41, v17
	v_mul_f32_e32 v17, v1, v19
	v_mul_f32_e32 v66, v0, v19
	v_fma_f32 v19, v4, v37, -v58
	v_fma_f32 v4, v6, v43, -v59
	;; [unrolled: 1-line block ×3, first 2 shown]
	v_sub_f32_e32 v8, v5, v7
	v_add_f32_e32 v6, v21, v5
	v_add_f32_e32 v5, v5, v7
	;; [unrolled: 1-line block ×3, first 2 shown]
	v_fmac_f32_e32 v15, v48, v14
	v_fma_f32 v40, v0, v18, -v17
	v_fmac_f32_e32 v66, v1, v18
	v_add_f32_e32 v0, v20, v19
	v_add_f32_e32 v1, v19, v4
	v_fma_f32 v5, -0.5, v5, v21
	v_fma_f32 v14, -0.5, v13, v33
	v_fma_f32 v38, v10, v45, -v9
	v_fma_f32 v39, v41, v16, -v64
	v_fmac_f32_e32 v65, v42, v16
	v_sub_f32_e32 v9, v19, v4
	v_add_f32_e32 v0, v0, v4
	v_fma_f32 v4, -0.5, v1, v20
	v_add_f32_e32 v1, v6, v7
	v_mov_b32_e32 v7, v5
	v_sub_f32_e32 v13, v63, v15
	v_mov_b32_e32 v16, v14
	v_mul_f32_e32 v11, v11, v45
	v_mov_b32_e32 v6, v4
	v_fmac_f32_e32 v5, 0x3f5db3d7, v9
	v_fmac_f32_e32 v7, 0xbf5db3d7, v9
	v_add_f32_e32 v9, v37, v38
	v_fmac_f32_e32 v16, 0x3f5db3d7, v13
	v_fmac_f32_e32 v14, 0xbf5db3d7, v13
	v_add_f32_e32 v13, v34, v63
	v_fmac_f32_e32 v11, v10, v46
	v_fmac_f32_e32 v4, 0xbf5db3d7, v8
	;; [unrolled: 1-line block ×3, first 2 shown]
	v_add_f32_e32 v8, v22, v37
	v_fma_f32 v22, -0.5, v9, v22
	v_add_f32_e32 v13, v13, v15
	v_add_f32_e32 v15, v63, v15
	v_sub_f32_e32 v9, v61, v11
	v_mov_b32_e32 v10, v22
	v_fma_f32 v15, -0.5, v15, v34
	v_fmac_f32_e32 v10, 0x3f5db3d7, v9
	v_fmac_f32_e32 v22, 0xbf5db3d7, v9
	v_add_f32_e32 v9, v23, v61
	v_sub_f32_e32 v18, v28, v29
	v_mov_b32_e32 v17, v15
	v_add_f32_e32 v19, v39, v40
	v_add_f32_e32 v9, v9, v11
	;; [unrolled: 1-line block ×3, first 2 shown]
	v_fmac_f32_e32 v17, 0xbf5db3d7, v18
	v_fmac_f32_e32 v15, 0x3f5db3d7, v18
	v_add_f32_e32 v18, v35, v39
	v_fma_f32 v35, -0.5, v19, v35
	v_fmac_f32_e32 v23, -0.5, v11
	v_sub_f32_e32 v19, v65, v66
	v_mov_b32_e32 v20, v35
	v_add_f32_e32 v21, v65, v66
	v_sub_f32_e32 v12, v37, v38
	v_mov_b32_e32 v11, v23
	v_fmac_f32_e32 v20, 0x3f5db3d7, v19
	v_fmac_f32_e32 v35, 0xbf5db3d7, v19
	v_add_f32_e32 v19, v36, v65
	v_fmac_f32_e32 v36, -0.5, v21
	v_fmac_f32_e32 v11, 0xbf5db3d7, v12
	v_fmac_f32_e32 v23, 0x3f5db3d7, v12
	v_add_f32_e32 v12, v33, v28
	v_sub_f32_e32 v28, v39, v40
	v_mov_b32_e32 v21, v36
	v_mov_b32_e32 v58, 3
	v_add_f32_e32 v12, v12, v29
	v_fmac_f32_e32 v21, 0xbf5db3d7, v28
	v_fmac_f32_e32 v36, 0x3f5db3d7, v28
	v_mul_u32_u24_e32 v28, 0x138, v50
	v_lshlrev_b32_sdwa v29, v58, v51 dst_sel:DWORD dst_unused:UNUSED_PAD src0_sel:DWORD src1_sel:BYTE_0
	v_add3_u32 v28, 0, v28, v29
	ds_write2_b64 v28, v[0:1], v[6:7] offset1:13
	ds_write_b64 v28, v[4:5] offset:208
	v_mul_u32_u24_e32 v0, 0x138, v52
	v_lshlrev_b32_e32 v1, 3, v53
	v_add_f32_e32 v8, v8, v38
	v_add3_u32 v0, 0, v0, v1
	ds_write2_b64 v0, v[8:9], v[10:11] offset1:13
	ds_write_b64 v0, v[22:23] offset:208
	v_mul_u32_u24_e32 v0, 0x138, v54
	v_lshlrev_b32_e32 v1, 3, v55
	v_add3_u32 v0, 0, v0, v1
	ds_write2_b64 v0, v[12:13], v[16:17] offset1:13
	ds_write_b64 v0, v[14:15] offset:208
	v_mul_u32_u24_e32 v0, 0x138, v56
	v_lshlrev_b32_e32 v1, 3, v57
	v_add_f32_e32 v18, v18, v40
	v_add_f32_e32 v19, v19, v66
	v_add3_u32 v0, 0, v0, v1
	ds_write2_b64 v0, v[18:19], v[20:21] offset1:13
	ds_write_b64 v0, v[35:36] offset:208
	v_mul_lo_u16_sdwa v0, v24, s4 dst_sel:DWORD dst_unused:UNUSED_PAD src0_sel:BYTE_0 src1_sel:DWORD
	v_sub_u16_sdwa v1, v24, v0 dst_sel:DWORD dst_unused:UNUSED_PAD src0_sel:DWORD src1_sel:BYTE_1
	v_lshrrev_b16_e32 v1, 1, v1
	v_and_b32_e32 v1, 0x7f, v1
	v_add_u16_sdwa v0, v1, v0 dst_sel:DWORD dst_unused:UNUSED_PAD src0_sel:DWORD src1_sel:BYTE_1
	v_lshrrev_b16_e32 v0, 5, v0
	v_and_b32_e32 v23, 7, v0
	v_mul_lo_u16_e32 v0, 39, v23
	v_sub_u16_e32 v53, v24, v0
	v_mul_u32_u24_sdwa v0, v53, v58 dst_sel:DWORD dst_unused:UNUSED_PAD src0_sel:BYTE_0 src1_sel:DWORD
	v_lshlrev_b32_e32 v4, 3, v0
	s_mov_b32 s4, 0xa41b
	s_waitcnt lgkmcnt(0)
	s_barrier
	global_load_dwordx4 v[5:8], v4, s[8:9] offset:208
	global_load_dwordx2 v[0:1], v4, s[8:9] offset:224
	v_mul_u32_u24_sdwa v4, v25, s4 dst_sel:DWORD dst_unused:UNUSED_PAD src0_sel:WORD_0 src1_sel:DWORD
	v_sub_u16_sdwa v9, v25, v4 dst_sel:DWORD dst_unused:UNUSED_PAD src0_sel:DWORD src1_sel:WORD_1
	v_lshrrev_b16_e32 v9, 1, v9
	v_add_u16_sdwa v4, v9, v4 dst_sel:DWORD dst_unused:UNUSED_PAD src0_sel:DWORD src1_sel:WORD_1
	v_lshrrev_b16_e32 v54, 5, v4
	v_mul_lo_u16_e32 v4, 39, v54
	v_sub_u16_e32 v25, v25, v4
	v_mul_u32_u24_e32 v4, 3, v25
	v_lshlrev_b32_e32 v4, 3, v4
	global_load_dwordx4 v[9:12], v4, s[8:9] offset:208
	global_load_dwordx2 v[21:22], v4, s[8:9] offset:224
	v_mul_u32_u24_sdwa v4, v49, s4 dst_sel:DWORD dst_unused:UNUSED_PAD src0_sel:WORD_0 src1_sel:DWORD
	v_sub_u16_sdwa v13, v49, v4 dst_sel:DWORD dst_unused:UNUSED_PAD src0_sel:DWORD src1_sel:WORD_1
	v_lshrrev_b16_e32 v13, 1, v13
	v_add_u16_sdwa v4, v13, v4 dst_sel:DWORD dst_unused:UNUSED_PAD src0_sel:DWORD src1_sel:WORD_1
	v_lshrrev_b16_e32 v55, 5, v4
	v_mul_lo_u16_e32 v4, 39, v55
	v_sub_u16_e32 v56, v49, v4
	v_mul_u32_u24_e32 v4, 3, v56
	v_lshlrev_b32_e32 v4, 3, v4
	global_load_dwordx4 v[13:16], v4, s[8:9] offset:208
	global_load_dwordx2 v[28:29], v4, s[8:9] offset:224
	ds_read2_b64 v[17:20], v30 offset1:156
	ds_read2_b64 v[33:36], v31 offset0:56 offset1:212
	ds_read2_b64 v[37:40], v3 offset0:40 offset1:196
	;; [unrolled: 1-line block ×4, first 2 shown]
	v_add_u32_e32 v4, 0x3000, v30
	ds_read2_b64 v[49:52], v4 offset0:24 offset1:180
	s_movk_i32 s4, 0x4e0
	v_mul_u32_u24_sdwa v23, v23, s4 dst_sel:DWORD dst_unused:UNUSED_PAD src0_sel:WORD_0 src1_sel:DWORD
	s_waitcnt vmcnt(0) lgkmcnt(0)
	s_barrier
	s_movk_i32 s4, 0x2000
	v_mul_f32_e32 v57, v6, v36
	v_mul_f32_e32 v6, v6, v35
	v_fma_f32 v57, v5, v35, -v57
	v_fmac_f32_e32 v6, v5, v36
	v_mul_f32_e32 v5, v8, v38
	v_mul_f32_e32 v8, v8, v37
	v_fma_f32 v5, v7, v37, -v5
	v_fmac_f32_e32 v8, v7, v38
	;; [unrolled: 4-line block ×3, first 2 shown]
	v_mul_f32_e32 v0, v10, v46
	v_fma_f32 v35, v9, v45, -v0
	v_mul_f32_e32 v0, v12, v40
	v_fma_f32 v37, v11, v39, -v0
	v_mul_f32_e32 v12, v12, v39
	v_mul_f32_e32 v0, v50, v22
	v_fmac_f32_e32 v12, v11, v40
	v_fma_f32 v11, v49, v21, -v0
	v_mul_f32_e32 v22, v49, v22
	v_mul_f32_e32 v0, v48, v14
	;; [unrolled: 1-line block ×3, first 2 shown]
	v_fmac_f32_e32 v22, v50, v21
	v_fma_f32 v21, v47, v13, -v0
	v_mul_f32_e32 v38, v47, v14
	v_mul_f32_e32 v0, v42, v16
	v_fmac_f32_e32 v36, v9, v46
	v_fmac_f32_e32 v38, v48, v13
	v_fma_f32 v39, v41, v15, -v0
	v_mul_f32_e32 v40, v41, v16
	v_mul_f32_e32 v0, v52, v29
	;; [unrolled: 1-line block ×3, first 2 shown]
	v_sub_f32_e32 v10, v18, v8
	v_sub_f32_e32 v13, v57, v7
	;; [unrolled: 1-line block ×4, first 2 shown]
	v_fmac_f32_e32 v40, v42, v15
	v_fma_f32 v41, v51, v28, -v0
	v_fmac_f32_e32 v29, v52, v28
	v_sub_f32_e32 v9, v17, v5
	v_fma_f32 v8, v18, 2.0, -v10
	v_fma_f32 v1, v6, 2.0, -v7
	v_sub_f32_e32 v15, v36, v22
	v_fma_f32 v11, v35, 2.0, -v16
	v_sub_f32_e32 v35, v33, v39
	;; [unrolled: 2-line block ×3, first 2 shown]
	v_sub_f32_e32 v17, v19, v37
	v_sub_f32_e32 v18, v20, v12
	v_fma_f32 v12, v36, 2.0, -v15
	v_sub_f32_e32 v36, v34, v40
	v_fma_f32 v22, v33, 2.0, -v35
	v_sub_f32_e32 v33, v21, v41
	v_sub_f32_e32 v29, v38, v29
	v_fma_f32 v0, v57, 2.0, -v13
	v_fma_f32 v6, v8, 2.0, -v1
	v_add_f32_e32 v8, v10, v13
	v_fma_f32 v13, v19, 2.0, -v17
	v_fma_f32 v14, v20, 2.0, -v18
	;; [unrolled: 1-line block ×5, first 2 shown]
	v_sub_f32_e32 v19, v22, v19
	v_sub_f32_e32 v20, v28, v20
	v_fma_f32 v21, v22, 2.0, -v19
	v_fma_f32 v22, v28, 2.0, -v20
	v_sub_f32_e32 v28, v35, v29
	v_sub_f32_e32 v0, v5, v0
	;; [unrolled: 1-line block ×3, first 2 shown]
	v_add_f32_e32 v29, v36, v33
	v_fma_f32 v33, v35, 2.0, -v28
	v_lshlrev_b32_sdwa v35, v58, v53 dst_sel:DWORD dst_unused:UNUSED_PAD src0_sel:DWORD src1_sel:BYTE_0
	v_fma_f32 v5, v5, 2.0, -v0
	v_fma_f32 v9, v9, 2.0, -v7
	v_fma_f32 v10, v10, 2.0, -v8
	v_add3_u32 v23, 0, v23, v35
	v_sub_f32_e32 v11, v13, v11
	v_sub_f32_e32 v12, v14, v12
	;; [unrolled: 1-line block ×3, first 2 shown]
	v_add_f32_e32 v16, v18, v16
	ds_write2_b64 v23, v[5:6], v[9:10] offset1:39
	ds_write2_b64 v23, v[0:1], v[7:8] offset0:78 offset1:117
	v_mul_u32_u24_e32 v0, 0x4e0, v54
	v_lshlrev_b32_e32 v1, 3, v25
	v_fma_f32 v13, v13, 2.0, -v11
	v_fma_f32 v14, v14, 2.0, -v12
	;; [unrolled: 1-line block ×4, first 2 shown]
	v_add3_u32 v0, 0, v0, v1
	ds_write2_b64 v0, v[13:14], v[17:18] offset1:39
	ds_write2_b64 v0, v[11:12], v[15:16] offset0:78 offset1:117
	v_mul_u32_u24_e32 v0, 0x4e0, v55
	v_lshlrev_b32_e32 v1, 3, v56
	v_fma_f32 v34, v36, 2.0, -v29
	v_add3_u32 v0, 0, v0, v1
	ds_write2_b64 v0, v[21:22], v[33:34] offset1:39
	ds_write2_b64 v0, v[19:20], v[28:29] offset0:78 offset1:117
	v_mul_u32_u24_e32 v0, 5, v24
	v_lshlrev_b32_e32 v13, 3, v0
	s_waitcnt lgkmcnt(0)
	s_barrier
	global_load_dwordx4 v[5:8], v13, s[8:9] offset:1144
	global_load_dwordx4 v[9:12], v13, s[8:9] offset:1160
	global_load_dwordx2 v[0:1], v13, s[8:9] offset:1176
	ds_read2_b64 v[13:16], v30 offset1:156
	ds_read2_b64 v[17:20], v31 offset0:56 offset1:212
	ds_read2_b64 v[33:36], v2 offset0:48 offset1:204
	;; [unrolled: 1-line block ×5, first 2 shown]
	s_waitcnt vmcnt(0) lgkmcnt(0)
	s_barrier
	v_mul_f32_e32 v21, v6, v18
	v_mul_f32_e32 v23, v10, v38
	;; [unrolled: 1-line block ×3, first 2 shown]
	v_fma_f32 v21, v5, v17, -v21
	v_mul_f32_e32 v17, v6, v17
	v_fma_f32 v23, v9, v37, -v23
	v_fmac_f32_e32 v25, v9, v38
	v_mul_f32_e32 v37, v20, v6
	v_mul_f32_e32 v38, v19, v6
	v_fmac_f32_e32 v17, v5, v18
	v_fma_f32 v37, v19, v5, -v37
	v_fmac_f32_e32 v38, v20, v5
	v_mul_f32_e32 v5, v36, v8
	v_fma_f32 v19, v35, v7, -v5
	v_mul_f32_e32 v5, v40, v10
	v_mul_f32_e32 v18, v8, v34
	;; [unrolled: 1-line block ×5, first 2 shown]
	v_fma_f32 v35, v39, v9, -v5
	v_mul_f32_e32 v5, v44, v12
	v_fma_f32 v18, v7, v33, -v18
	v_fmac_f32_e32 v22, v7, v34
	v_mul_f32_e32 v28, v12, v42
	v_fmac_f32_e32 v29, v11, v42
	v_mul_f32_e32 v33, v1, v46
	v_mul_f32_e32 v34, v1, v45
	v_fmac_f32_e32 v20, v36, v7
	v_mul_f32_e32 v36, v39, v10
	v_fma_f32 v39, v43, v11, -v5
	v_mul_f32_e32 v5, v48, v1
	v_mul_f32_e32 v42, v47, v1
	v_fma_f32 v28, v11, v41, -v28
	v_fma_f32 v33, v0, v45, -v33
	v_fmac_f32_e32 v34, v0, v46
	v_fma_f32 v41, v47, v0, -v5
	v_fmac_f32_e32 v42, v48, v0
	v_add_f32_e32 v0, v13, v18
	v_fmac_f32_e32 v36, v40, v9
	v_add_f32_e32 v9, v0, v28
	v_add_f32_e32 v0, v18, v28
	v_mul_f32_e32 v40, v43, v12
	v_fma_f32 v10, -0.5, v0, v13
	v_fmac_f32_e32 v40, v44, v11
	v_sub_f32_e32 v0, v22, v29
	v_mov_b32_e32 v11, v10
	v_fmac_f32_e32 v11, 0x3f5db3d7, v0
	v_fmac_f32_e32 v10, 0xbf5db3d7, v0
	v_add_f32_e32 v0, v14, v22
	v_add_f32_e32 v12, v0, v29
	;; [unrolled: 1-line block ×3, first 2 shown]
	v_fma_f32 v14, -0.5, v0, v14
	v_sub_f32_e32 v0, v18, v28
	v_mov_b32_e32 v18, v14
	v_fmac_f32_e32 v18, 0xbf5db3d7, v0
	v_fmac_f32_e32 v14, 0x3f5db3d7, v0
	v_add_f32_e32 v0, v21, v23
	v_add_f32_e32 v13, v0, v33
	;; [unrolled: 1-line block ×3, first 2 shown]
	v_fmac_f32_e32 v21, -0.5, v0
	v_sub_f32_e32 v0, v25, v34
	v_mov_b32_e32 v6, v21
	v_fmac_f32_e32 v6, 0x3f5db3d7, v0
	v_fmac_f32_e32 v21, 0xbf5db3d7, v0
	v_add_f32_e32 v0, v17, v25
	v_add_f32_e32 v22, v0, v34
	;; [unrolled: 1-line block ×3, first 2 shown]
	v_fmac_f32_e32 v17, -0.5, v0
	v_sub_f32_e32 v0, v23, v33
	v_mov_b32_e32 v8, v17
	v_fmac_f32_e32 v17, 0x3f5db3d7, v0
	v_mul_f32_e32 v25, -0.5, v21
	v_fmac_f32_e32 v8, 0xbf5db3d7, v0
	v_fmac_f32_e32 v25, 0x3f5db3d7, v17
	v_mul_f32_e32 v17, -0.5, v17
	v_mul_f32_e32 v23, 0x3f5db3d7, v8
	v_mul_f32_e32 v28, 0xbf5db3d7, v6
	v_fmac_f32_e32 v17, 0xbf5db3d7, v21
	v_fmac_f32_e32 v23, 0.5, v6
	v_fmac_f32_e32 v28, 0.5, v8
	v_add_f32_e32 v8, v14, v17
	v_sub_f32_e32 v14, v14, v17
	v_add_f32_e32 v17, v15, v19
	v_add_f32_e32 v5, v11, v23
	v_sub_f32_e32 v11, v11, v23
	v_add_f32_e32 v23, v17, v39
	v_add_f32_e32 v17, v19, v39
	v_fma_f32 v15, -0.5, v17, v15
	v_add_f32_e32 v0, v9, v13
	v_add_f32_e32 v7, v10, v25
	v_sub_f32_e32 v9, v9, v13
	v_sub_f32_e32 v13, v10, v25
	v_sub_f32_e32 v17, v20, v40
	v_mov_b32_e32 v25, v15
	v_fmac_f32_e32 v25, 0x3f5db3d7, v17
	v_fmac_f32_e32 v15, 0xbf5db3d7, v17
	v_add_f32_e32 v17, v16, v20
	v_add_f32_e32 v29, v17, v40
	;; [unrolled: 1-line block ×3, first 2 shown]
	v_fmac_f32_e32 v16, -0.5, v17
	v_sub_f32_e32 v17, v19, v39
	v_mov_b32_e32 v34, v16
	v_fmac_f32_e32 v34, 0xbf5db3d7, v17
	v_fmac_f32_e32 v16, 0x3f5db3d7, v17
	v_add_f32_e32 v17, v37, v35
	v_add_f32_e32 v1, v12, v22
	;; [unrolled: 1-line block ×3, first 2 shown]
	v_sub_f32_e32 v10, v12, v22
	v_sub_f32_e32 v12, v18, v28
	v_add_f32_e32 v28, v17, v41
	v_add_f32_e32 v17, v35, v41
	v_fmac_f32_e32 v37, -0.5, v17
	v_sub_f32_e32 v17, v36, v42
	v_mov_b32_e32 v20, v37
	v_fmac_f32_e32 v20, 0x3f5db3d7, v17
	v_fmac_f32_e32 v37, 0xbf5db3d7, v17
	v_add_f32_e32 v17, v38, v36
	v_add_f32_e32 v39, v17, v42
	v_add_f32_e32 v17, v36, v42
	v_fmac_f32_e32 v38, -0.5, v17
	v_sub_f32_e32 v17, v35, v41
	v_mov_b32_e32 v22, v38
	v_fmac_f32_e32 v22, 0xbf5db3d7, v17
	v_fmac_f32_e32 v38, 0x3f5db3d7, v17
	v_mul_f32_e32 v33, 0x3f5db3d7, v22
	v_mul_f32_e32 v35, -0.5, v37
	v_fmac_f32_e32 v33, 0.5, v20
	v_fmac_f32_e32 v35, 0x3f5db3d7, v38
	v_mul_f32_e32 v36, 0xbf5db3d7, v20
	v_mul_f32_e32 v38, -0.5, v38
	v_add_f32_e32 v19, v25, v33
	v_fmac_f32_e32 v36, 0.5, v22
	v_fmac_f32_e32 v38, 0xbf5db3d7, v37
	v_sub_f32_e32 v33, v25, v33
	v_mov_b32_e32 v25, 0
	v_add_f32_e32 v17, v23, v28
	v_add_f32_e32 v21, v15, v35
	;; [unrolled: 1-line block ×5, first 2 shown]
	v_sub_f32_e32 v28, v23, v28
	v_sub_f32_e32 v15, v15, v35
	;; [unrolled: 1-line block ×5, first 2 shown]
	ds_write2_b64 v30, v[0:1], v[5:6] offset1:156
	ds_write2_b64 v31, v[7:8], v[9:10] offset0:56 offset1:212
	ds_write2_b64 v2, v[11:12], v[13:14] offset0:48 offset1:204
	;; [unrolled: 1-line block ×5, first 2 shown]
	v_lshlrev_b64 v[0:1], 3, v[24:25]
	v_mov_b32_e32 v5, s9
	v_add_co_u32_e32 v7, vcc, s8, v0
	v_addc_co_u32_e32 v8, vcc, v5, v1, vcc
	v_add_co_u32_e32 v5, vcc, s6, v7
	v_addc_co_u32_e32 v6, vcc, 0, v8, vcc
	s_waitcnt lgkmcnt(0)
	s_barrier
	global_load_dwordx2 v[21:22], v[5:6], off offset:3288
	v_add_co_u32_e32 v5, vcc, s4, v7
	v_addc_co_u32_e32 v6, vcc, 0, v8, vcc
	global_load_dwordx2 v[28:29], v[5:6], off offset:440
	global_load_dwordx2 v[41:42], v[5:6], off offset:1688
	s_movk_i32 s4, 0x3000
	global_load_dwordx2 v[43:44], v[5:6], off offset:2936
	v_add_co_u32_e32 v5, vcc, s4, v7
	v_addc_co_u32_e32 v6, vcc, 0, v8, vcc
	global_load_dwordx2 v[45:46], v[5:6], off offset:88
	global_load_dwordx2 v[47:48], v[5:6], off offset:1336
	ds_read2_b64 v[5:8], v30 offset1:156
	ds_read2_b64 v[9:12], v3 offset0:40 offset1:196
	ds_read2_b64 v[13:16], v31 offset0:56 offset1:212
	ds_read2_b64 v[17:20], v32 offset0:96 offset1:252
	ds_read2_b64 v[33:36], v2 offset0:48 offset1:204
	ds_read2_b64 v[37:40], v4 offset0:24 offset1:180
	s_waitcnt vmcnt(0) lgkmcnt(0)
	s_barrier
	s_add_u32 s6, s8, 0x3a18
	s_addc_u32 s7, s9, 0
	v_cmp_ne_u32_e32 vcc, 0, v24
	v_mul_f32_e32 v23, v22, v10
	v_fma_f32 v23, v21, v9, -v23
	v_mul_f32_e32 v22, v22, v9
	v_fmac_f32_e32 v22, v21, v10
	v_mul_f32_e32 v9, v29, v12
	v_fma_f32 v21, v28, v11, -v9
	v_mul_f32_e32 v25, v29, v11
	v_mul_f32_e32 v9, v42, v18
	v_fmac_f32_e32 v25, v28, v12
	v_fma_f32 v28, v41, v17, -v9
	v_mul_f32_e32 v29, v42, v17
	v_mul_f32_e32 v9, v44, v20
	v_fmac_f32_e32 v29, v41, v18
	;; [unrolled: 4-line block ×4, first 2 shown]
	v_fma_f32 v38, v39, v47, -v9
	v_mul_f32_e32 v39, v39, v48
	v_fmac_f32_e32 v39, v40, v47
	v_sub_f32_e32 v9, v5, v23
	v_sub_f32_e32 v10, v6, v22
	;; [unrolled: 1-line block ×6, first 2 shown]
	v_fma_f32 v5, v5, 2.0, -v9
	v_fma_f32 v6, v6, 2.0, -v10
	v_fma_f32 v7, v7, 2.0, -v11
	v_fma_f32 v8, v8, 2.0, -v12
	v_sub_f32_e32 v17, v13, v28
	v_sub_f32_e32 v18, v14, v29
	;; [unrolled: 1-line block ×4, first 2 shown]
	v_fma_f32 v28, v33, 2.0, -v21
	v_fma_f32 v29, v34, 2.0, -v22
	v_sub_f32_e32 v33, v35, v38
	v_sub_f32_e32 v34, v36, v39
	v_fma_f32 v13, v13, 2.0, -v17
	v_fma_f32 v14, v14, 2.0, -v18
	;; [unrolled: 1-line block ×6, first 2 shown]
	ds_write2_b64 v30, v[5:6], v[7:8] offset1:156
	ds_write2_b64 v3, v[9:10], v[11:12] offset0:40 offset1:196
	ds_write2_b64 v31, v[13:14], v[15:16] offset0:56 offset1:212
	;; [unrolled: 1-line block ×5, first 2 shown]
	s_waitcnt lgkmcnt(0)
	s_barrier
	ds_read_b64 v[4:5], v30
	v_lshlrev_b32_e32 v2, 3, v24
	v_sub_u32_e32 v6, 0, v2
                                        ; implicit-def: $vgpr2
                                        ; implicit-def: $vgpr7
                                        ; implicit-def: $vgpr8
	s_and_saveexec_b64 s[4:5], vcc
	s_xor_b64 s[4:5], exec, s[4:5]
	s_cbranch_execz .LBB0_15
; %bb.14:
	v_mov_b32_e32 v3, s7
	v_add_co_u32_e32 v2, vcc, s6, v0
	v_addc_co_u32_e32 v3, vcc, v3, v1, vcc
	global_load_dwordx2 v[9:10], v[2:3], off
	ds_read_b64 v[2:3], v6 offset:14976
	s_waitcnt lgkmcnt(0)
	v_add_f32_e32 v11, v2, v4
	v_sub_f32_e32 v2, v4, v2
	v_add_f32_e32 v7, v3, v5
	v_sub_f32_e32 v3, v5, v3
	v_mul_f32_e32 v5, 0.5, v2
	v_mul_f32_e32 v4, 0.5, v7
	;; [unrolled: 1-line block ×3, first 2 shown]
	s_waitcnt vmcnt(0)
	v_mul_f32_e32 v3, v10, v5
	v_fma_f32 v8, v4, v10, v2
	v_fma_f32 v10, v4, v10, -v2
	v_fma_f32 v7, 0.5, v11, v3
	v_fma_f32 v2, v11, 0.5, -v3
	v_fma_f32 v8, -v9, v5, v8
	v_fmac_f32_e32 v7, v9, v4
	v_fma_f32 v2, -v9, v4, v2
	v_fma_f32 v3, -v9, v5, v10
                                        ; implicit-def: $vgpr4_vgpr5
.LBB0_15:
	s_andn2_saveexec_b64 s[4:5], s[4:5]
	s_cbranch_execz .LBB0_17
; %bb.16:
	v_mov_b32_e32 v8, 0
	ds_read_b32 v3, v8 offset:7492
	s_waitcnt lgkmcnt(1)
	v_add_f32_e32 v7, v4, v5
	v_sub_f32_e32 v2, v4, v5
	s_waitcnt lgkmcnt(0)
	v_xor_b32_e32 v3, 0x80000000, v3
	ds_write_b32 v8, v3 offset:7492
	v_mov_b32_e32 v3, 0
.LBB0_17:
	s_or_b64 exec, exec, s[4:5]
	s_waitcnt lgkmcnt(0)
	v_mov_b32_e32 v5, s7
	v_add_co_u32_e32 v4, vcc, s6, v0
	v_addc_co_u32_e32 v5, vcc, v5, v1, vcc
	global_load_dwordx2 v[9:10], v[4:5], off offset:1248
	global_load_dwordx2 v[11:12], v[4:5], off offset:2496
	;; [unrolled: 1-line block ×3, first 2 shown]
	s_movk_i32 s4, 0x1000
	v_add_co_u32_e32 v4, vcc, s4, v4
	ds_write2_b32 v30, v7, v8 offset1:1
	ds_write_b64 v6, v[2:3] offset:14976
	v_addc_co_u32_e32 v5, vcc, 0, v5, vcc
	ds_read_b64 v[2:3], v30 offset:1248
	ds_read_b64 v[7:8], v6 offset:13728
	global_load_dwordx2 v[15:16], v[4:5], off offset:896
	v_add_u32_e32 v17, 0x400, v30
	s_waitcnt lgkmcnt(0)
	v_add_f32_e32 v18, v2, v7
	v_sub_f32_e32 v2, v2, v7
	v_add_f32_e32 v19, v3, v8
	v_sub_f32_e32 v3, v3, v8
	v_mul_f32_e32 v2, 0.5, v2
	v_mul_f32_e32 v7, 0.5, v19
	v_mul_f32_e32 v3, 0.5, v3
	s_waitcnt vmcnt(3)
	v_mul_f32_e32 v8, v10, v2
	v_fma_f32 v19, v7, v10, v3
	v_fma_f32 v3, v7, v10, -v3
	v_fma_f32 v10, 0.5, v18, v8
	v_fma_f32 v19, -v9, v2, v19
	v_fma_f32 v8, v18, 0.5, -v8
	v_fmac_f32_e32 v10, v9, v7
	v_fma_f32 v3, -v9, v2, v3
	v_fma_f32 v2, -v9, v7, v8
	ds_write2_b32 v17, v10, v19 offset0:56 offset1:57
	ds_write_b64 v6, v[2:3] offset:13728
	ds_read_b64 v[7:8], v30 offset:2496
	ds_read_b64 v[9:10], v6 offset:12480
	global_load_dwordx2 v[3:4], v[4:5], off offset:2144
	v_add_u32_e32 v2, 0x800, v30
	s_waitcnt lgkmcnt(0)
	v_add_f32_e32 v5, v7, v9
	v_sub_f32_e32 v7, v7, v9
	v_add_f32_e32 v17, v8, v10
	v_sub_f32_e32 v8, v8, v10
	v_mul_f32_e32 v7, 0.5, v7
	v_mul_f32_e32 v9, 0.5, v17
	;; [unrolled: 1-line block ×3, first 2 shown]
	s_waitcnt vmcnt(3)
	v_mul_f32_e32 v10, v12, v7
	v_fma_f32 v17, v9, v12, v8
	v_fma_f32 v8, v9, v12, -v8
	v_fma_f32 v12, 0.5, v5, v10
	v_fma_f32 v17, -v11, v7, v17
	v_fma_f32 v5, v5, 0.5, -v10
	v_fmac_f32_e32 v12, v11, v9
	v_fma_f32 v8, -v11, v7, v8
	v_fma_f32 v7, -v11, v9, v5
	ds_write2_b32 v2, v12, v17 offset0:112 offset1:113
	ds_write_b64 v6, v[7:8] offset:12480
	ds_read_b64 v[7:8], v30 offset:3744
	ds_read_b64 v[9:10], v6 offset:11232
	v_add_u32_e32 v5, 0xc00, v30
	s_waitcnt lgkmcnt(0)
	v_add_f32_e32 v11, v7, v9
	v_sub_f32_e32 v7, v7, v9
	v_add_f32_e32 v12, v8, v10
	v_sub_f32_e32 v8, v8, v10
	v_mul_f32_e32 v7, 0.5, v7
	v_mul_f32_e32 v9, 0.5, v12
	;; [unrolled: 1-line block ×3, first 2 shown]
	s_waitcnt vmcnt(2)
	v_mul_f32_e32 v10, v14, v7
	v_fma_f32 v12, v9, v14, v8
	v_fma_f32 v8, v9, v14, -v8
	v_fma_f32 v14, 0.5, v11, v10
	v_fma_f32 v12, -v13, v7, v12
	v_fma_f32 v10, v11, 0.5, -v10
	v_fmac_f32_e32 v14, v13, v9
	v_fma_f32 v8, -v13, v7, v8
	v_fma_f32 v7, -v13, v9, v10
	ds_write2_b32 v5, v14, v12 offset0:168 offset1:169
	ds_write_b64 v6, v[7:8] offset:11232
	ds_read_b64 v[7:8], v30 offset:4992
	ds_read_b64 v[9:10], v6 offset:9984
	v_add_u32_e32 v5, 0x1000, v30
	s_waitcnt lgkmcnt(0)
	v_add_f32_e32 v11, v7, v9
	v_sub_f32_e32 v7, v7, v9
	v_add_f32_e32 v12, v8, v10
	v_sub_f32_e32 v8, v8, v10
	v_mul_f32_e32 v7, 0.5, v7
	v_mul_f32_e32 v9, 0.5, v12
	;; [unrolled: 1-line block ×3, first 2 shown]
	s_waitcnt vmcnt(1)
	v_mul_f32_e32 v10, v16, v7
	v_fma_f32 v12, v9, v16, v8
	v_fma_f32 v13, 0.5, v11, v10
	v_fma_f32 v8, v9, v16, -v8
	v_fma_f32 v12, -v15, v7, v12
	v_fma_f32 v10, v11, 0.5, -v10
	v_fmac_f32_e32 v13, v15, v9
	v_fma_f32 v8, -v15, v7, v8
	v_fma_f32 v7, -v15, v9, v10
	ds_write2_b32 v5, v13, v12 offset0:224 offset1:225
	ds_write_b64 v6, v[7:8] offset:9984
	ds_read_b64 v[7:8], v30 offset:6240
	ds_read_b64 v[9:10], v6 offset:8736
	v_add_u32_e32 v5, 0x1800, v30
	s_waitcnt lgkmcnt(0)
	v_add_f32_e32 v11, v7, v9
	v_sub_f32_e32 v7, v7, v9
	v_add_f32_e32 v12, v8, v10
	v_sub_f32_e32 v8, v8, v10
	v_mul_f32_e32 v7, 0.5, v7
	v_mul_f32_e32 v9, 0.5, v12
	;; [unrolled: 1-line block ×3, first 2 shown]
	s_waitcnt vmcnt(0)
	v_mul_f32_e32 v10, v4, v7
	v_fma_f32 v12, v9, v4, v8
	v_fma_f32 v4, v9, v4, -v8
	v_fma_f32 v8, 0.5, v11, v10
	v_fma_f32 v12, -v3, v7, v12
	v_fma_f32 v10, v11, 0.5, -v10
	v_fmac_f32_e32 v8, v3, v9
	v_fma_f32 v4, -v3, v7, v4
	v_fma_f32 v3, -v3, v9, v10
	ds_write2_b32 v5, v8, v12 offset0:24 offset1:25
	ds_write_b64 v6, v[3:4] offset:8736
	s_waitcnt lgkmcnt(0)
	s_barrier
	s_and_saveexec_b64 s[6:7], s[0:1]
	s_cbranch_execz .LBB0_20
; %bb.18:
	ds_read2_b64 v[5:8], v30 offset1:156
	v_mov_b32_e32 v3, s3
	v_add_co_u32_e32 v4, vcc, s2, v26
	v_addc_co_u32_e32 v3, vcc, v3, v27, vcc
	ds_read2_b64 v[9:12], v2 offset0:56 offset1:212
	v_add_co_u32_e32 v0, vcc, v4, v0
	v_addc_co_u32_e32 v1, vcc, v3, v1, vcc
	s_waitcnt lgkmcnt(1)
	global_store_dwordx2 v[0:1], v[5:6], off
	global_store_dwordx2 v[0:1], v[7:8], off offset:1248
	s_waitcnt lgkmcnt(0)
	global_store_dwordx2 v[0:1], v[9:10], off offset:2496
	global_store_dwordx2 v[0:1], v[11:12], off offset:3744
	v_add_u32_e32 v2, 0x1200, v30
	ds_read2_b64 v[5:8], v2 offset0:48 offset1:204
	v_add_u32_e32 v2, 0x1c00, v30
	ds_read2_b64 v[9:12], v2 offset0:40 offset1:196
	v_add_co_u32_e32 v13, vcc, s4, v0
	v_addc_co_u32_e32 v14, vcc, 0, v1, vcc
	s_waitcnt lgkmcnt(1)
	global_store_dwordx2 v[13:14], v[5:6], off offset:896
	global_store_dwordx2 v[13:14], v[7:8], off offset:2144
	s_waitcnt lgkmcnt(0)
	global_store_dwordx2 v[13:14], v[9:10], off offset:3392
	v_add_u32_e32 v2, 0x2400, v30
	ds_read2_b64 v[5:8], v2 offset0:96 offset1:252
	s_movk_i32 s0, 0x2000
	v_add_co_u32_e32 v9, vcc, s0, v0
	v_addc_co_u32_e32 v10, vcc, 0, v1, vcc
	global_store_dwordx2 v[9:10], v[11:12], off offset:544
	s_waitcnt lgkmcnt(0)
	global_store_dwordx2 v[9:10], v[5:6], off offset:1792
	global_store_dwordx2 v[9:10], v[7:8], off offset:3040
	v_add_u32_e32 v2, 0x3000, v30
	ds_read2_b64 v[5:8], v2 offset0:24 offset1:180
	v_add_co_u32_e32 v0, vcc, 0x3000, v0
	v_addc_co_u32_e32 v1, vcc, 0, v1, vcc
	s_movk_i32 s0, 0x9b
	v_cmp_eq_u32_e32 vcc, s0, v24
	s_waitcnt lgkmcnt(0)
	global_store_dwordx2 v[0:1], v[5:6], off offset:192
	global_store_dwordx2 v[0:1], v[7:8], off offset:1440
	s_and_b64 exec, exec, vcc
	s_cbranch_execz .LBB0_20
; %bb.19:
	v_mov_b32_e32 v0, 0
	ds_read_b64 v[0:1], v0 offset:14976
	v_add_co_u32_e32 v2, vcc, 0x3000, v4
	v_addc_co_u32_e32 v3, vcc, 0, v3, vcc
	s_waitcnt lgkmcnt(0)
	global_store_dwordx2 v[2:3], v[0:1], off offset:2688
.LBB0_20:
	s_endpgm
	.section	.rodata,"a",@progbits
	.p2align	6, 0x0
	.amdhsa_kernel fft_rtc_fwd_len1872_factors_13_3_4_6_2_wgs_156_tpt_156_halfLds_sp_ip_CI_unitstride_sbrr_R2C_dirReg
		.amdhsa_group_segment_fixed_size 0
		.amdhsa_private_segment_fixed_size 0
		.amdhsa_kernarg_size 88
		.amdhsa_user_sgpr_count 6
		.amdhsa_user_sgpr_private_segment_buffer 1
		.amdhsa_user_sgpr_dispatch_ptr 0
		.amdhsa_user_sgpr_queue_ptr 0
		.amdhsa_user_sgpr_kernarg_segment_ptr 1
		.amdhsa_user_sgpr_dispatch_id 0
		.amdhsa_user_sgpr_flat_scratch_init 0
		.amdhsa_user_sgpr_private_segment_size 0
		.amdhsa_uses_dynamic_stack 0
		.amdhsa_system_sgpr_private_segment_wavefront_offset 0
		.amdhsa_system_sgpr_workgroup_id_x 1
		.amdhsa_system_sgpr_workgroup_id_y 0
		.amdhsa_system_sgpr_workgroup_id_z 0
		.amdhsa_system_sgpr_workgroup_info 0
		.amdhsa_system_vgpr_workitem_id 0
		.amdhsa_next_free_vgpr 100
		.amdhsa_next_free_sgpr 22
		.amdhsa_reserve_vcc 1
		.amdhsa_reserve_flat_scratch 0
		.amdhsa_float_round_mode_32 0
		.amdhsa_float_round_mode_16_64 0
		.amdhsa_float_denorm_mode_32 3
		.amdhsa_float_denorm_mode_16_64 3
		.amdhsa_dx10_clamp 1
		.amdhsa_ieee_mode 1
		.amdhsa_fp16_overflow 0
		.amdhsa_exception_fp_ieee_invalid_op 0
		.amdhsa_exception_fp_denorm_src 0
		.amdhsa_exception_fp_ieee_div_zero 0
		.amdhsa_exception_fp_ieee_overflow 0
		.amdhsa_exception_fp_ieee_underflow 0
		.amdhsa_exception_fp_ieee_inexact 0
		.amdhsa_exception_int_div_zero 0
	.end_amdhsa_kernel
	.text
.Lfunc_end0:
	.size	fft_rtc_fwd_len1872_factors_13_3_4_6_2_wgs_156_tpt_156_halfLds_sp_ip_CI_unitstride_sbrr_R2C_dirReg, .Lfunc_end0-fft_rtc_fwd_len1872_factors_13_3_4_6_2_wgs_156_tpt_156_halfLds_sp_ip_CI_unitstride_sbrr_R2C_dirReg
                                        ; -- End function
	.section	.AMDGPU.csdata,"",@progbits
; Kernel info:
; codeLenInByte = 8880
; NumSgprs: 26
; NumVgprs: 100
; ScratchSize: 0
; MemoryBound: 0
; FloatMode: 240
; IeeeMode: 1
; LDSByteSize: 0 bytes/workgroup (compile time only)
; SGPRBlocks: 3
; VGPRBlocks: 24
; NumSGPRsForWavesPerEU: 26
; NumVGPRsForWavesPerEU: 100
; Occupancy: 2
; WaveLimiterHint : 1
; COMPUTE_PGM_RSRC2:SCRATCH_EN: 0
; COMPUTE_PGM_RSRC2:USER_SGPR: 6
; COMPUTE_PGM_RSRC2:TRAP_HANDLER: 0
; COMPUTE_PGM_RSRC2:TGID_X_EN: 1
; COMPUTE_PGM_RSRC2:TGID_Y_EN: 0
; COMPUTE_PGM_RSRC2:TGID_Z_EN: 0
; COMPUTE_PGM_RSRC2:TIDIG_COMP_CNT: 0
	.type	__hip_cuid_d370b1ab2b20af7c,@object ; @__hip_cuid_d370b1ab2b20af7c
	.section	.bss,"aw",@nobits
	.globl	__hip_cuid_d370b1ab2b20af7c
__hip_cuid_d370b1ab2b20af7c:
	.byte	0                               ; 0x0
	.size	__hip_cuid_d370b1ab2b20af7c, 1

	.ident	"AMD clang version 19.0.0git (https://github.com/RadeonOpenCompute/llvm-project roc-6.4.0 25133 c7fe45cf4b819c5991fe208aaa96edf142730f1d)"
	.section	".note.GNU-stack","",@progbits
	.addrsig
	.addrsig_sym __hip_cuid_d370b1ab2b20af7c
	.amdgpu_metadata
---
amdhsa.kernels:
  - .args:
      - .actual_access:  read_only
        .address_space:  global
        .offset:         0
        .size:           8
        .value_kind:     global_buffer
      - .offset:         8
        .size:           8
        .value_kind:     by_value
      - .actual_access:  read_only
        .address_space:  global
        .offset:         16
        .size:           8
        .value_kind:     global_buffer
      - .actual_access:  read_only
        .address_space:  global
        .offset:         24
        .size:           8
        .value_kind:     global_buffer
      - .offset:         32
        .size:           8
        .value_kind:     by_value
      - .actual_access:  read_only
        .address_space:  global
        .offset:         40
        .size:           8
        .value_kind:     global_buffer
      - .actual_access:  read_only
        .address_space:  global
        .offset:         48
        .size:           8
        .value_kind:     global_buffer
      - .offset:         56
        .size:           4
        .value_kind:     by_value
      - .actual_access:  read_only
        .address_space:  global
        .offset:         64
        .size:           8
        .value_kind:     global_buffer
      - .actual_access:  read_only
        .address_space:  global
        .offset:         72
        .size:           8
        .value_kind:     global_buffer
      - .address_space:  global
        .offset:         80
        .size:           8
        .value_kind:     global_buffer
    .group_segment_fixed_size: 0
    .kernarg_segment_align: 8
    .kernarg_segment_size: 88
    .language:       OpenCL C
    .language_version:
      - 2
      - 0
    .max_flat_workgroup_size: 156
    .name:           fft_rtc_fwd_len1872_factors_13_3_4_6_2_wgs_156_tpt_156_halfLds_sp_ip_CI_unitstride_sbrr_R2C_dirReg
    .private_segment_fixed_size: 0
    .sgpr_count:     26
    .sgpr_spill_count: 0
    .symbol:         fft_rtc_fwd_len1872_factors_13_3_4_6_2_wgs_156_tpt_156_halfLds_sp_ip_CI_unitstride_sbrr_R2C_dirReg.kd
    .uniform_work_group_size: 1
    .uses_dynamic_stack: false
    .vgpr_count:     100
    .vgpr_spill_count: 0
    .wavefront_size: 64
amdhsa.target:   amdgcn-amd-amdhsa--gfx906
amdhsa.version:
  - 1
  - 2
...

	.end_amdgpu_metadata
